;; amdgpu-corpus repo=ROCm/rocFFT kind=compiled arch=gfx1030 opt=O3
	.text
	.amdgcn_target "amdgcn-amd-amdhsa--gfx1030"
	.amdhsa_code_object_version 6
	.protected	fft_rtc_back_len1936_factors_2_2_4_11_11_wgs_176_tpt_176_dp_op_CI_CI_unitstride_sbrr_R2C_dirReg ; -- Begin function fft_rtc_back_len1936_factors_2_2_4_11_11_wgs_176_tpt_176_dp_op_CI_CI_unitstride_sbrr_R2C_dirReg
	.globl	fft_rtc_back_len1936_factors_2_2_4_11_11_wgs_176_tpt_176_dp_op_CI_CI_unitstride_sbrr_R2C_dirReg
	.p2align	8
	.type	fft_rtc_back_len1936_factors_2_2_4_11_11_wgs_176_tpt_176_dp_op_CI_CI_unitstride_sbrr_R2C_dirReg,@function
fft_rtc_back_len1936_factors_2_2_4_11_11_wgs_176_tpt_176_dp_op_CI_CI_unitstride_sbrr_R2C_dirReg: ; @fft_rtc_back_len1936_factors_2_2_4_11_11_wgs_176_tpt_176_dp_op_CI_CI_unitstride_sbrr_R2C_dirReg
; %bb.0:
	s_clause 0x2
	s_load_dwordx4 s[12:15], s[4:5], 0x0
	s_load_dwordx4 s[8:11], s[4:5], 0x58
	;; [unrolled: 1-line block ×3, first 2 shown]
	v_mul_u32_u24_e32 v1, 0x175, v0
	v_mov_b32_e32 v3, 0
	v_add_nc_u32_sdwa v5, s6, v1 dst_sel:DWORD dst_unused:UNUSED_PAD src0_sel:DWORD src1_sel:WORD_1
	v_mov_b32_e32 v1, 0
	v_mov_b32_e32 v6, v3
	v_mov_b32_e32 v2, 0
	s_waitcnt lgkmcnt(0)
	v_cmp_lt_u64_e64 s0, s[14:15], 2
	s_and_b32 vcc_lo, exec_lo, s0
	s_cbranch_vccnz .LBB0_8
; %bb.1:
	s_load_dwordx2 s[0:1], s[4:5], 0x10
	v_mov_b32_e32 v1, 0
	v_mov_b32_e32 v2, 0
	s_add_u32 s2, s18, 8
	s_addc_u32 s3, s19, 0
	s_add_u32 s6, s16, 8
	s_addc_u32 s7, s17, 0
	v_mov_b32_e32 v77, v2
	v_mov_b32_e32 v76, v1
	s_mov_b64 s[22:23], 1
	s_waitcnt lgkmcnt(0)
	s_add_u32 s20, s0, 8
	s_addc_u32 s21, s1, 0
.LBB0_2:                                ; =>This Inner Loop Header: Depth=1
	s_load_dwordx2 s[24:25], s[20:21], 0x0
                                        ; implicit-def: $vgpr80_vgpr81
	s_mov_b32 s0, exec_lo
	s_waitcnt lgkmcnt(0)
	v_or_b32_e32 v4, s25, v6
	v_cmpx_ne_u64_e32 0, v[3:4]
	s_xor_b32 s1, exec_lo, s0
	s_cbranch_execz .LBB0_4
; %bb.3:                                ;   in Loop: Header=BB0_2 Depth=1
	v_cvt_f32_u32_e32 v4, s24
	v_cvt_f32_u32_e32 v7, s25
	s_sub_u32 s0, 0, s24
	s_subb_u32 s26, 0, s25
	v_fmac_f32_e32 v4, 0x4f800000, v7
	v_rcp_f32_e32 v4, v4
	v_mul_f32_e32 v4, 0x5f7ffffc, v4
	v_mul_f32_e32 v7, 0x2f800000, v4
	v_trunc_f32_e32 v7, v7
	v_fmac_f32_e32 v4, 0xcf800000, v7
	v_cvt_u32_f32_e32 v7, v7
	v_cvt_u32_f32_e32 v4, v4
	v_mul_lo_u32 v8, s0, v7
	v_mul_hi_u32 v9, s0, v4
	v_mul_lo_u32 v10, s26, v4
	v_add_nc_u32_e32 v8, v9, v8
	v_mul_lo_u32 v9, s0, v4
	v_add_nc_u32_e32 v8, v8, v10
	v_mul_hi_u32 v10, v4, v9
	v_mul_lo_u32 v11, v4, v8
	v_mul_hi_u32 v12, v4, v8
	v_mul_hi_u32 v13, v7, v9
	v_mul_lo_u32 v9, v7, v9
	v_mul_hi_u32 v14, v7, v8
	v_mul_lo_u32 v8, v7, v8
	v_add_co_u32 v10, vcc_lo, v10, v11
	v_add_co_ci_u32_e32 v11, vcc_lo, 0, v12, vcc_lo
	v_add_co_u32 v9, vcc_lo, v10, v9
	v_add_co_ci_u32_e32 v9, vcc_lo, v11, v13, vcc_lo
	v_add_co_ci_u32_e32 v10, vcc_lo, 0, v14, vcc_lo
	v_add_co_u32 v8, vcc_lo, v9, v8
	v_add_co_ci_u32_e32 v9, vcc_lo, 0, v10, vcc_lo
	v_add_co_u32 v4, vcc_lo, v4, v8
	v_add_co_ci_u32_e32 v7, vcc_lo, v7, v9, vcc_lo
	v_mul_hi_u32 v8, s0, v4
	v_mul_lo_u32 v10, s26, v4
	v_mul_lo_u32 v9, s0, v7
	v_add_nc_u32_e32 v8, v8, v9
	v_mul_lo_u32 v9, s0, v4
	v_add_nc_u32_e32 v8, v8, v10
	v_mul_hi_u32 v10, v4, v9
	v_mul_lo_u32 v11, v4, v8
	v_mul_hi_u32 v12, v4, v8
	v_mul_hi_u32 v13, v7, v9
	v_mul_lo_u32 v9, v7, v9
	v_mul_hi_u32 v14, v7, v8
	v_mul_lo_u32 v8, v7, v8
	v_add_co_u32 v10, vcc_lo, v10, v11
	v_add_co_ci_u32_e32 v11, vcc_lo, 0, v12, vcc_lo
	v_add_co_u32 v9, vcc_lo, v10, v9
	v_add_co_ci_u32_e32 v9, vcc_lo, v11, v13, vcc_lo
	v_add_co_ci_u32_e32 v10, vcc_lo, 0, v14, vcc_lo
	v_add_co_u32 v8, vcc_lo, v9, v8
	v_add_co_ci_u32_e32 v9, vcc_lo, 0, v10, vcc_lo
	v_add_co_u32 v4, vcc_lo, v4, v8
	v_add_co_ci_u32_e32 v11, vcc_lo, v7, v9, vcc_lo
	v_mul_hi_u32 v13, v5, v4
	v_mad_u64_u32 v[9:10], null, v6, v4, 0
	v_mad_u64_u32 v[7:8], null, v5, v11, 0
	;; [unrolled: 1-line block ×3, first 2 shown]
	v_add_co_u32 v4, vcc_lo, v13, v7
	v_add_co_ci_u32_e32 v7, vcc_lo, 0, v8, vcc_lo
	v_add_co_u32 v4, vcc_lo, v4, v9
	v_add_co_ci_u32_e32 v4, vcc_lo, v7, v10, vcc_lo
	v_add_co_ci_u32_e32 v7, vcc_lo, 0, v12, vcc_lo
	v_add_co_u32 v4, vcc_lo, v4, v11
	v_add_co_ci_u32_e32 v9, vcc_lo, 0, v7, vcc_lo
	v_mul_lo_u32 v10, s25, v4
	v_mad_u64_u32 v[7:8], null, s24, v4, 0
	v_mul_lo_u32 v11, s24, v9
	v_sub_co_u32 v7, vcc_lo, v5, v7
	v_add3_u32 v8, v8, v11, v10
	v_sub_nc_u32_e32 v10, v6, v8
	v_subrev_co_ci_u32_e64 v10, s0, s25, v10, vcc_lo
	v_add_co_u32 v11, s0, v4, 2
	v_add_co_ci_u32_e64 v12, s0, 0, v9, s0
	v_sub_co_u32 v13, s0, v7, s24
	v_sub_co_ci_u32_e32 v8, vcc_lo, v6, v8, vcc_lo
	v_subrev_co_ci_u32_e64 v10, s0, 0, v10, s0
	v_cmp_le_u32_e32 vcc_lo, s24, v13
	v_cmp_eq_u32_e64 s0, s25, v8
	v_cndmask_b32_e64 v13, 0, -1, vcc_lo
	v_cmp_le_u32_e32 vcc_lo, s25, v10
	v_cndmask_b32_e64 v14, 0, -1, vcc_lo
	v_cmp_le_u32_e32 vcc_lo, s24, v7
	;; [unrolled: 2-line block ×3, first 2 shown]
	v_cndmask_b32_e64 v15, 0, -1, vcc_lo
	v_cmp_eq_u32_e32 vcc_lo, s25, v10
	v_cndmask_b32_e64 v7, v15, v7, s0
	v_cndmask_b32_e32 v10, v14, v13, vcc_lo
	v_add_co_u32 v13, vcc_lo, v4, 1
	v_add_co_ci_u32_e32 v14, vcc_lo, 0, v9, vcc_lo
	v_cmp_ne_u32_e32 vcc_lo, 0, v10
	v_cndmask_b32_e32 v8, v14, v12, vcc_lo
	v_cndmask_b32_e32 v10, v13, v11, vcc_lo
	v_cmp_ne_u32_e32 vcc_lo, 0, v7
	v_cndmask_b32_e32 v81, v9, v8, vcc_lo
	v_cndmask_b32_e32 v80, v4, v10, vcc_lo
.LBB0_4:                                ;   in Loop: Header=BB0_2 Depth=1
	s_andn2_saveexec_b32 s0, s1
	s_cbranch_execz .LBB0_6
; %bb.5:                                ;   in Loop: Header=BB0_2 Depth=1
	v_cvt_f32_u32_e32 v4, s24
	s_sub_i32 s1, 0, s24
	v_mov_b32_e32 v81, v3
	v_rcp_iflag_f32_e32 v4, v4
	v_mul_f32_e32 v4, 0x4f7ffffe, v4
	v_cvt_u32_f32_e32 v4, v4
	v_mul_lo_u32 v7, s1, v4
	v_mul_hi_u32 v7, v4, v7
	v_add_nc_u32_e32 v4, v4, v7
	v_mul_hi_u32 v4, v5, v4
	v_mul_lo_u32 v7, v4, s24
	v_add_nc_u32_e32 v8, 1, v4
	v_sub_nc_u32_e32 v7, v5, v7
	v_subrev_nc_u32_e32 v9, s24, v7
	v_cmp_le_u32_e32 vcc_lo, s24, v7
	v_cndmask_b32_e32 v7, v7, v9, vcc_lo
	v_cndmask_b32_e32 v4, v4, v8, vcc_lo
	v_cmp_le_u32_e32 vcc_lo, s24, v7
	v_add_nc_u32_e32 v8, 1, v4
	v_cndmask_b32_e32 v80, v4, v8, vcc_lo
.LBB0_6:                                ;   in Loop: Header=BB0_2 Depth=1
	s_or_b32 exec_lo, exec_lo, s0
	v_mul_lo_u32 v4, v81, s24
	v_mul_lo_u32 v9, v80, s25
	s_load_dwordx2 s[0:1], s[6:7], 0x0
	v_mad_u64_u32 v[7:8], null, v80, s24, 0
	s_load_dwordx2 s[24:25], s[2:3], 0x0
	s_add_u32 s22, s22, 1
	s_addc_u32 s23, s23, 0
	s_add_u32 s2, s2, 8
	s_addc_u32 s3, s3, 0
	s_add_u32 s6, s6, 8
	v_add3_u32 v4, v8, v9, v4
	v_sub_co_u32 v5, vcc_lo, v5, v7
	s_addc_u32 s7, s7, 0
	s_add_u32 s20, s20, 8
	v_sub_co_ci_u32_e32 v4, vcc_lo, v6, v4, vcc_lo
	s_addc_u32 s21, s21, 0
	s_waitcnt lgkmcnt(0)
	v_mul_lo_u32 v6, s0, v4
	v_mul_lo_u32 v7, s1, v5
	v_mad_u64_u32 v[1:2], null, s0, v5, v[1:2]
	v_mul_lo_u32 v4, s24, v4
	v_mul_lo_u32 v8, s25, v5
	v_mad_u64_u32 v[76:77], null, s24, v5, v[76:77]
	v_cmp_ge_u64_e64 s0, s[22:23], s[14:15]
	v_add3_u32 v2, v7, v2, v6
	v_add3_u32 v77, v8, v77, v4
	s_and_b32 vcc_lo, exec_lo, s0
	s_cbranch_vccnz .LBB0_9
; %bb.7:                                ;   in Loop: Header=BB0_2 Depth=1
	v_mov_b32_e32 v5, v80
	v_mov_b32_e32 v6, v81
	s_branch .LBB0_2
.LBB0_8:
	v_mov_b32_e32 v77, v2
	v_mov_b32_e32 v81, v6
	;; [unrolled: 1-line block ×4, first 2 shown]
.LBB0_9:
	s_load_dwordx2 s[0:1], s[4:5], 0x28
	v_mul_hi_u32 v3, 0x1745d18, v0
	s_lshl_b64 s[4:5], s[14:15], 3
                                        ; implicit-def: $vgpr78
                                        ; implicit-def: $vgpr83
                                        ; implicit-def: $vgpr87
                                        ; implicit-def: $vgpr86
                                        ; implicit-def: $vgpr85
                                        ; implicit-def: $vgpr82
	s_add_u32 s2, s18, s4
	s_addc_u32 s3, s19, s5
	s_waitcnt lgkmcnt(0)
	v_cmp_gt_u64_e32 vcc_lo, s[0:1], v[80:81]
	v_cmp_le_u64_e64 s0, s[0:1], v[80:81]
	s_and_saveexec_b32 s1, s0
	s_xor_b32 s0, exec_lo, s1
; %bb.10:
	v_mul_u32_u24_e32 v1, 0xb0, v3
                                        ; implicit-def: $vgpr3
	v_sub_nc_u32_e32 v78, v0, v1
                                        ; implicit-def: $vgpr0
                                        ; implicit-def: $vgpr1_vgpr2
	v_add_nc_u32_e32 v83, 0xb0, v78
	v_add_nc_u32_e32 v87, 0x160, v78
	;; [unrolled: 1-line block ×5, first 2 shown]
; %bb.11:
	s_andn2_saveexec_b32 s1, s0
	s_cbranch_execz .LBB0_13
; %bb.12:
	s_add_u32 s4, s16, s4
	s_addc_u32 s5, s17, s5
	v_lshlrev_b64 v[1:2], 4, v[1:2]
	s_load_dwordx2 s[4:5], s[4:5], 0x0
	s_waitcnt lgkmcnt(0)
	v_mul_lo_u32 v6, s5, v80
	v_mul_lo_u32 v7, s4, v81
	v_mad_u64_u32 v[4:5], null, s4, v80, 0
	v_add3_u32 v5, v5, v7, v6
	v_mul_u32_u24_e32 v6, 0xb0, v3
	v_lshlrev_b64 v[3:4], 4, v[4:5]
	v_sub_nc_u32_e32 v78, v0, v6
	v_lshlrev_b32_e32 v44, 4, v78
	v_add_co_u32 v0, s0, s8, v3
	v_add_co_ci_u32_e64 v3, s0, s9, v4, s0
	v_add_nc_u32_e32 v83, 0xb0, v78
	v_add_co_u32 v0, s0, v0, v1
	v_add_co_ci_u32_e64 v1, s0, v3, v2, s0
	v_add_nc_u32_e32 v87, 0x160, v78
	;; [unrolled: 3-line block ×3, first 2 shown]
	v_add_co_u32 v4, s0, 0x800, v24
	v_add_co_ci_u32_e64 v5, s0, 0, v25, s0
	v_add_co_u32 v8, s0, 0x1000, v24
	v_add_co_ci_u32_e64 v9, s0, 0, v25, s0
	;; [unrolled: 2-line block ×10, first 2 shown]
	s_clause 0xa
	global_load_dwordx4 v[0:3], v[24:25], off
	global_load_dwordx4 v[4:7], v[4:5], off offset:768
	global_load_dwordx4 v[8:11], v[8:9], off offset:1536
	global_load_dwordx4 v[12:15], v[12:13], off offset:256
	global_load_dwordx4 v[16:19], v[16:17], off offset:1024
	global_load_dwordx4 v[20:23], v[20:21], off offset:1792
	global_load_dwordx4 v[24:27], v[26:27], off offset:512
	global_load_dwordx4 v[28:31], v[28:29], off offset:1280
	global_load_dwordx4 v[32:35], v[32:33], off
	global_load_dwordx4 v[36:39], v[36:37], off offset:768
	global_load_dwordx4 v[40:43], v[40:41], off offset:1536
	v_add_nc_u32_e32 v86, 0x210, v78
	v_add_nc_u32_e32 v85, 0x2c0, v78
	;; [unrolled: 1-line block ×3, first 2 shown]
	s_waitcnt vmcnt(10)
	ds_write_b128 v44, v[0:3]
	s_waitcnt vmcnt(9)
	ds_write_b128 v44, v[4:7] offset:2816
	s_waitcnt vmcnt(8)
	ds_write_b128 v44, v[8:11] offset:5632
	;; [unrolled: 2-line block ×10, first 2 shown]
.LBB0_13:
	s_or_b32 exec_lo, exec_lo, s1
	v_lshlrev_b32_e32 v84, 4, v78
	s_load_dwordx2 s[2:3], s[2:3], 0x0
	s_waitcnt lgkmcnt(0)
	s_barrier
	buffer_gl0_inv
	v_add_nc_u32_e32 v89, 0, v84
	v_lshl_add_u32 v48, v83, 5, 0
	v_lshl_add_u32 v64, v87, 5, 0
	;; [unrolled: 1-line block ×4, first 2 shown]
	ds_read_b128 v[0:3], v89 offset:15488
	ds_read_b128 v[4:7], v89
	ds_read_b128 v[8:11], v89 offset:2816
	ds_read_b128 v[12:15], v89 offset:18304
	;; [unrolled: 1-line block ×10, first 2 shown]
	v_cmp_gt_u32_e64 s0, 0x58, v78
	s_waitcnt lgkmcnt(0)
	s_barrier
	buffer_gl0_inv
	v_add_f64 v[49:50], v[4:5], -v[0:1]
	v_add_f64 v[51:52], v[6:7], -v[2:3]
	;; [unrolled: 1-line block ×12, first 2 shown]
	v_fma_f64 v[4:5], v[4:5], 2.0, -v[49:50]
	v_fma_f64 v[6:7], v[6:7], 2.0, -v[51:52]
	;; [unrolled: 1-line block ×12, first 2 shown]
	v_add_nc_u32_e32 v40, v89, v84
	ds_write_b128 v40, v[49:52] offset:16
	ds_write_b128 v48, v[53:56] offset:16
	;; [unrolled: 1-line block ×4, first 2 shown]
	ds_write_b128 v40, v[4:7]
	ds_write_b128 v48, v[8:11]
	;; [unrolled: 1-line block ×5, first 2 shown]
	ds_write_b128 v61, v[32:35] offset:16
	s_and_saveexec_b32 s1, s0
	s_cbranch_execz .LBB0_15
; %bb.14:
	v_lshl_add_u32 v4, v82, 5, 0
	ds_write_b128 v4, v[12:15]
	ds_write_b128 v4, v[0:3] offset:16
.LBB0_15:
	s_or_b32 exec_lo, exec_lo, s1
	v_lshlrev_b32_e32 v52, 4, v83
	v_lshlrev_b32_e32 v53, 4, v87
	;; [unrolled: 1-line block ×4, first 2 shown]
	s_waitcnt lgkmcnt(0)
	v_sub_nc_u32_e32 v16, v48, v52
	v_sub_nc_u32_e32 v17, v64, v53
	;; [unrolled: 1-line block ×4, first 2 shown]
	s_barrier
	buffer_gl0_inv
	ds_read_b128 v[8:11], v89
	ds_read_b128 v[4:7], v89 offset:15488
	ds_read_b128 v[24:27], v16
	ds_read_b128 v[16:19], v17
	ds_read_b128 v[36:39], v89 offset:18304
	ds_read_b128 v[32:35], v89 offset:21120
	ds_read_b128 v[28:31], v20
	ds_read_b128 v[20:23], v21
	ds_read_b128 v[44:47], v89 offset:23936
	ds_read_b128 v[40:43], v89 offset:26752
	v_lshlrev_b32_e32 v54, 1, v83
	v_lshlrev_b32_e32 v51, 1, v87
	;; [unrolled: 1-line block ×4, first 2 shown]
	v_lshl_add_u32 v90, v82, 4, 0
	s_and_saveexec_b32 s1, s0
	s_cbranch_execz .LBB0_17
; %bb.16:
	ds_read_b128 v[12:15], v90
	ds_read_b128 v[0:3], v89 offset:29568
.LBB0_17:
	s_or_b32 exec_lo, exec_lo, s1
	v_and_b32_e32 v55, 1, v78
	v_lshlrev_b32_e32 v56, 4, v55
	global_load_dwordx4 v[56:59], v56, s[12:13]
	s_waitcnt vmcnt(0) lgkmcnt(0)
	s_barrier
	buffer_gl0_inv
	v_mul_f64 v[65:66], v[6:7], v[58:59]
	v_mul_f64 v[67:68], v[4:5], v[58:59]
	;; [unrolled: 1-line block ×12, first 2 shown]
	v_fma_f64 v[4:5], v[4:5], v[56:57], v[65:66]
	v_fma_f64 v[6:7], v[6:7], v[56:57], -v[67:68]
	v_fma_f64 v[65:66], v[36:37], v[56:57], v[69:70]
	v_fma_f64 v[67:68], v[38:39], v[56:57], -v[71:72]
	;; [unrolled: 2-line block ×6, first 2 shown]
	v_add_f64 v[34:35], v[8:9], -v[4:5]
	v_add_f64 v[36:37], v[10:11], -v[6:7]
	;; [unrolled: 1-line block ×12, first 2 shown]
	v_lshlrev_b32_e32 v46, 1, v78
	v_and_or_b32 v47, 0x3fc, v54, v55
	v_sub_nc_u32_e32 v33, 0, v52
	v_sub_nc_u32_e32 v32, 0, v53
	v_and_or_b32 v46, 0x1fc, v46, v55
	v_fma_f64 v[65:66], v[8:9], 2.0, -v[34:35]
	v_fma_f64 v[67:68], v[10:11], 2.0, -v[36:37]
	;; [unrolled: 1-line block ×12, first 2 shown]
	v_and_or_b32 v20, 0x7fc, v51, v55
	v_and_or_b32 v21, 0x7fc, v50, v55
	;; [unrolled: 1-line block ×3, first 2 shown]
	v_lshl_add_u32 v23, v46, 4, 0
	v_lshl_add_u32 v46, v47, 4, 0
	;; [unrolled: 1-line block ×5, first 2 shown]
	ds_write_b128 v23, v[34:37] offset:32
	ds_write_b128 v23, v[65:68]
	ds_write_b128 v46, v[24:27]
	ds_write_b128 v46, v[38:41] offset:32
	ds_write_b128 v20, v[16:19]
	ds_write_b128 v20, v[42:45] offset:32
	;; [unrolled: 2-line block ×4, first 2 shown]
	s_and_saveexec_b32 s1, s0
	s_cbranch_execz .LBB0_19
; %bb.18:
	v_lshlrev_b32_e32 v16, 1, v82
	v_and_or_b32 v16, 0x7fc, v16, v55
	v_lshl_add_u32 v16, v16, 4, 0
	ds_write_b128 v16, v[12:15]
	ds_write_b128 v16, v[4:7] offset:32
.LBB0_19:
	s_or_b32 exec_lo, exec_lo, s1
	v_add_nc_u32_e32 v92, v48, v33
	s_waitcnt lgkmcnt(0)
	s_barrier
	buffer_gl0_inv
	ds_read_b128 v[16:19], v89
	ds_read_b128 v[36:39], v89 offset:7744
	ds_read_b128 v[52:55], v89 offset:15488
	;; [unrolled: 1-line block ×5, first 2 shown]
	ds_read_b128 v[20:23], v92
	ds_read_b128 v[48:51], v89 offset:26048
	v_cmp_gt_u32_e64 s1, 0x84, v78
	v_add_nc_u32_e32 v91, v64, v32
	s_and_saveexec_b32 s4, s1
	s_cbranch_execz .LBB0_21
; %bb.20:
	ds_read_b128 v[0:3], v89 offset:13376
	ds_read_b128 v[12:15], v89 offset:21120
	ds_read_b128 v[8:11], v91
	ds_read_b128 v[4:7], v89 offset:28864
.LBB0_21:
	s_or_b32 exec_lo, exec_lo, s4
	v_and_b32_e32 v64, 3, v78
	v_mul_u32_u24_e32 v24, 3, v64
	v_lshlrev_b32_e32 v24, 4, v24
	s_clause 0x2
	global_load_dwordx4 v[32:35], v24, s[12:13] offset:32
	global_load_dwordx4 v[28:31], v24, s[12:13] offset:48
	;; [unrolled: 1-line block ×3, first 2 shown]
	s_waitcnt vmcnt(0) lgkmcnt(0)
	s_barrier
	buffer_gl0_inv
	v_mul_f64 v[65:66], v[38:39], v[34:35]
	v_mul_f64 v[67:68], v[36:37], v[34:35]
	;; [unrolled: 1-line block ×12, first 2 shown]
	v_fma_f64 v[36:37], v[36:37], v[32:33], v[65:66]
	v_fma_f64 v[38:39], v[38:39], v[32:33], -v[67:68]
	v_fma_f64 v[52:53], v[52:53], v[28:29], v[69:70]
	v_fma_f64 v[54:55], v[54:55], v[28:29], -v[71:72]
	;; [unrolled: 2-line block ×6, first 2 shown]
	v_add_f64 v[52:53], v[16:17], -v[52:53]
	v_add_f64 v[54:55], v[18:19], -v[54:55]
	;; [unrolled: 1-line block ×8, first 2 shown]
	v_fma_f64 v[67:68], v[16:17], 2.0, -v[52:53]
	v_fma_f64 v[71:72], v[18:19], 2.0, -v[54:55]
	;; [unrolled: 1-line block ×4, first 2 shown]
	v_add_f64 v[16:17], v[52:53], v[58:59]
	v_add_f64 v[18:19], v[54:55], -v[56:57]
	v_fma_f64 v[73:74], v[20:21], 2.0, -v[65:66]
	v_fma_f64 v[93:94], v[22:23], 2.0, -v[69:70]
	;; [unrolled: 1-line block ×4, first 2 shown]
	v_add_f64 v[20:21], v[65:66], v[44:45]
	v_add_f64 v[36:37], v[67:68], -v[36:37]
	v_add_f64 v[38:39], v[71:72], -v[38:39]
	v_fma_f64 v[48:49], v[54:55], 2.0, -v[18:19]
	v_add_f64 v[42:43], v[73:74], -v[22:23]
	v_add_f64 v[44:45], v[93:94], -v[40:41]
	;; [unrolled: 1-line block ×3, first 2 shown]
	v_fma_f64 v[46:47], v[52:53], 2.0, -v[16:17]
	v_fma_f64 v[50:51], v[65:66], 2.0, -v[20:21]
	v_lshlrev_b32_e32 v40, 2, v78
	v_lshlrev_b32_e32 v41, 2, v83
	v_and_or_b32 v58, 0x3f0, v40, v64
	v_and_or_b32 v59, 0x7f0, v41, v64
	v_sub_nc_u32_e32 v40, 0, v62
	v_sub_nc_u32_e32 v41, 0, v63
	v_lshl_add_u32 v58, v58, 4, 0
	v_fma_f64 v[54:55], v[67:68], 2.0, -v[36:37]
	v_fma_f64 v[56:57], v[71:72], 2.0, -v[38:39]
	v_lshl_add_u32 v59, v59, 4, 0
	v_fma_f64 v[65:66], v[73:74], 2.0, -v[42:43]
	v_fma_f64 v[67:68], v[93:94], 2.0, -v[44:45]
	v_fma_f64 v[52:53], v[69:70], 2.0, -v[22:23]
	ds_write_b128 v58, v[16:19] offset:192
	ds_write_b128 v58, v[46:49] offset:64
	;; [unrolled: 1-line block ×3, first 2 shown]
	ds_write_b128 v58, v[54:57]
	ds_write_b128 v59, v[65:68]
	ds_write_b128 v59, v[50:53] offset:64
	ds_write_b128 v59, v[42:45] offset:128
	;; [unrolled: 1-line block ×3, first 2 shown]
	s_and_saveexec_b32 s4, s1
	s_cbranch_execz .LBB0_23
; %bb.22:
	v_mul_f64 v[16:17], v[12:13], v[30:31]
	v_mul_f64 v[18:19], v[2:3], v[34:35]
	v_mul_f64 v[20:21], v[0:1], v[34:35]
	v_mul_f64 v[22:23], v[4:5], v[26:27]
	v_mul_f64 v[30:31], v[14:15], v[30:31]
	v_mul_f64 v[26:27], v[6:7], v[26:27]
	v_fma_f64 v[14:15], v[14:15], v[28:29], -v[16:17]
	v_fma_f64 v[0:1], v[0:1], v[32:33], v[18:19]
	v_fma_f64 v[2:3], v[2:3], v[32:33], -v[20:21]
	v_fma_f64 v[6:7], v[6:7], v[24:25], -v[22:23]
	v_fma_f64 v[12:13], v[12:13], v[28:29], v[30:31]
	v_fma_f64 v[4:5], v[4:5], v[24:25], v[26:27]
	v_add_f64 v[14:15], v[10:11], -v[14:15]
	v_add_f64 v[6:7], v[2:3], -v[6:7]
	;; [unrolled: 1-line block ×4, first 2 shown]
	v_fma_f64 v[16:17], v[10:11], 2.0, -v[14:15]
	v_fma_f64 v[10:11], v[2:3], 2.0, -v[6:7]
	v_fma_f64 v[18:19], v[8:9], 2.0, -v[12:13]
	v_fma_f64 v[8:9], v[0:1], 2.0, -v[4:5]
	v_add_f64 v[2:3], v[14:15], -v[4:5]
	v_add_f64 v[0:1], v[12:13], v[6:7]
	v_add_f64 v[6:7], v[16:17], -v[10:11]
	v_add_f64 v[4:5], v[18:19], -v[8:9]
	v_fma_f64 v[10:11], v[14:15], 2.0, -v[2:3]
	v_fma_f64 v[8:9], v[12:13], 2.0, -v[0:1]
	;; [unrolled: 1-line block ×3, first 2 shown]
	v_lshlrev_b32_e32 v16, 2, v87
	v_fma_f64 v[12:13], v[18:19], 2.0, -v[4:5]
	v_and_or_b32 v16, 0xff0, v16, v64
	v_lshl_add_u32 v16, v16, 4, 0
	ds_write_b128 v16, v[8:11] offset:64
	ds_write_b128 v16, v[4:7] offset:128
	ds_write_b128 v16, v[12:15]
	ds_write_b128 v16, v[0:3] offset:192
.LBB0_23:
	s_or_b32 exec_lo, exec_lo, s4
	v_and_b32_e32 v79, 15, v78
	s_waitcnt lgkmcnt(0)
	s_barrier
	buffer_gl0_inv
	v_add_nc_u32_e32 v94, v60, v40
	v_mul_u32_u24_e32 v0, 10, v79
	v_add_nc_u32_e32 v93, v61, v41
	v_mul_u32_u24_e32 v103, 10, v78
	s_mov_b32 s4, 0xf8bb580b
	s_mov_b32 s8, 0x8764f0ba
	v_lshlrev_b32_e32 v0, 4, v0
	s_mov_b32 s5, 0xbfe14ced
	v_lshlrev_b32_e32 v113, 4, v103
	s_mov_b32 s9, 0x3feaeb8c
	s_mov_b32 s14, 0x8eee2c13
	s_clause 0x9
	global_load_dwordx4 v[4:7], v0, s[12:13] offset:224
	global_load_dwordx4 v[64:67], v0, s[12:13] offset:368
	;; [unrolled: 1-line block ×10, first 2 shown]
	ds_read_b128 v[68:71], v89 offset:28160
	ds_read_b128 v[52:55], v89 offset:25344
	ds_read_b128 v[56:59], v91
	ds_read_b128 v[40:43], v90
	;; [unrolled: 1-line block ×3, first 2 shown]
	ds_read_b128 v[44:47], v89 offset:16896
	ds_read_b128 v[48:51], v89 offset:19712
	;; [unrolled: 1-line block ×3, first 2 shown]
	ds_read_b128 v[72:75], v92
	ds_read_b128 v[99:102], v93
	ds_read_b128 v[95:98], v94
	s_mov_b32 s18, 0xd9c712b6
	s_mov_b32 s15, 0xbfed1bb4
	;; [unrolled: 1-line block ×25, first 2 shown]
	v_lshrrev_b32_e32 v88, 4, v78
	s_waitcnt vmcnt(0) lgkmcnt(0)
	s_barrier
	buffer_gl0_inv
	v_mul_u32_u24_e32 v88, 0xb0, v88
	v_or_b32_e32 v79, v88, v79
	v_lshl_add_u32 v79, v79, 4, 0
	v_mul_f64 v[103:104], v[72:73], v[6:7]
	v_mul_f64 v[105:106], v[68:69], v[66:67]
	v_mul_f64 v[107:108], v[74:75], v[6:7]
	v_mul_f64 v[66:67], v[70:71], v[66:67]
	v_mul_f64 v[109:110], v[56:57], v[10:11]
	v_mul_f64 v[111:112], v[52:53], v[30:31]
	v_add_co_u32 v6, s1, s12, v113
	v_mul_f64 v[10:11], v[58:59], v[10:11]
	v_mul_f64 v[30:31], v[54:55], v[30:31]
	;; [unrolled: 1-line block ×14, first 2 shown]
	v_fma_f64 v[74:75], v[74:75], v[4:5], -v[103:104]
	v_fma_f64 v[70:71], v[70:71], v[64:65], -v[105:106]
	v_fma_f64 v[4:5], v[72:73], v[4:5], v[107:108]
	v_fma_f64 v[64:65], v[68:69], v[64:65], v[66:67]
	v_fma_f64 v[58:59], v[58:59], v[8:9], -v[109:110]
	v_fma_f64 v[54:55], v[54:55], v[28:29], -v[111:112]
	v_add_co_ci_u32_e64 v7, null, s13, 0, s1
	v_fma_f64 v[8:9], v[56:57], v[8:9], v[10:11]
	v_fma_f64 v[10:11], v[52:53], v[28:29], v[30:31]
	;; [unrolled: 1-line block ×3, first 2 shown]
	v_fma_f64 v[16:17], v[97:98], v[16:17], -v[18:19]
	v_fma_f64 v[18:19], v[62:63], v[36:37], -v[115:116]
	v_fma_f64 v[30:31], v[60:61], v[36:37], v[38:39]
	v_fma_f64 v[36:37], v[99:100], v[32:33], v[117:118]
	v_fma_f64 v[32:33], v[101:102], v[32:33], -v[34:35]
	v_fma_f64 v[34:35], v[50:51], v[24:25], -v[119:120]
	v_fma_f64 v[24:25], v[48:49], v[24:25], v[26:27]
	v_fma_f64 v[26:27], v[40:41], v[20:21], v[121:122]
	v_fma_f64 v[20:21], v[42:43], v[20:21], -v[22:23]
	v_fma_f64 v[22:23], v[46:47], v[12:13], -v[123:124]
	v_fma_f64 v[12:13], v[44:45], v[12:13], v[14:15]
	v_add_f64 v[46:47], v[2:3], v[74:75]
	v_add_f64 v[14:15], v[74:75], -v[70:71]
	v_add_f64 v[38:39], v[74:75], v[70:71]
	v_add_f64 v[42:43], v[4:5], v[64:65]
	v_add_f64 v[44:45], v[4:5], -v[64:65]
	v_add_f64 v[4:5], v[0:1], v[4:5]
	v_add_f64 v[40:41], v[58:59], -v[54:55]
	v_add_f64 v[50:51], v[58:59], v[54:55]
	v_add_f64 v[48:49], v[8:9], v[10:11]
	v_add_f64 v[52:53], v[8:9], -v[10:11]
	v_add_f64 v[56:57], v[16:17], -v[18:19]
	v_add_f64 v[62:63], v[16:17], v[18:19]
	v_add_f64 v[60:61], v[28:29], v[30:31]
	v_add_f64 v[66:67], v[28:29], -v[30:31]
	;; [unrolled: 4-line block ×3, first 2 shown]
	v_add_f64 v[97:98], v[20:21], -v[22:23]
	v_add_f64 v[103:104], v[20:21], v[22:23]
	v_add_f64 v[46:47], v[46:47], v[58:59]
	v_mul_f64 v[105:106], v[14:15], s[4:5]
	v_mul_f64 v[107:108], v[38:39], s[8:9]
	;; [unrolled: 1-line block ×4, first 2 shown]
	v_add_f64 v[4:5], v[4:5], v[8:9]
	v_mul_f64 v[113:114], v[14:15], s[20:21]
	v_mul_f64 v[115:116], v[38:39], s[22:23]
	;; [unrolled: 1-line block ×12, first 2 shown]
	v_add_f64 v[99:100], v[26:27], v[12:13]
	v_add_f64 v[101:102], v[26:27], -v[12:13]
	v_mul_f64 v[58:59], v[50:51], s[28:29]
	v_mul_f64 v[129:130], v[50:51], s[36:37]
	v_add_f64 v[16:17], v[46:47], v[16:17]
	v_fma_f64 v[181:182], v[42:43], s[8:9], v[105:106]
	v_fma_f64 v[183:184], v[44:45], s[6:7], v[107:108]
	v_mul_f64 v[131:132], v[50:51], s[22:23]
	v_mul_f64 v[50:51], v[50:51], s[8:9]
	v_add_f64 v[4:5], v[4:5], v[28:29]
	v_mul_f64 v[133:134], v[56:57], s[20:21]
	v_mul_f64 v[135:136], v[56:57], s[38:39]
	;; [unrolled: 1-line block ×16, first 2 shown]
	v_add_f64 v[16:17], v[16:17], v[32:33]
	v_mul_f64 v[159:160], v[74:75], s[22:23]
	v_mul_f64 v[161:162], v[74:75], s[8:9]
	;; [unrolled: 1-line block ×4, first 2 shown]
	v_add_f64 v[4:5], v[4:5], v[36:37]
	v_mul_f64 v[165:166], v[97:98], s[34:35]
	v_mul_f64 v[167:168], v[97:98], s[6:7]
	;; [unrolled: 1-line block ×10, first 2 shown]
	v_fma_f64 v[105:106], v[42:43], s[8:9], -v[105:106]
	v_fma_f64 v[107:108], v[44:45], s[4:5], v[107:108]
	v_fma_f64 v[185:186], v[42:43], s[18:19], v[109:110]
	;; [unrolled: 1-line block ×5, first 2 shown]
	v_fma_f64 v[109:110], v[42:43], s[18:19], -v[109:110]
	v_fma_f64 v[113:114], v[42:43], s[22:23], -v[113:114]
	v_fma_f64 v[193:194], v[42:43], s[28:29], v[117:118]
	v_fma_f64 v[195:196], v[44:45], s[30:31], v[119:120]
	v_fma_f64 v[117:118], v[42:43], s[28:29], -v[117:118]
	v_fma_f64 v[197:198], v[42:43], s[36:37], v[14:15]
	v_fma_f64 v[14:15], v[42:43], s[36:37], -v[14:15]
	v_fma_f64 v[42:43], v[44:45], s[38:39], v[38:39]
	v_fma_f64 v[38:39], v[44:45], s[34:35], v[38:39]
	;; [unrolled: 1-line block ×5, first 2 shown]
	v_add_f64 v[4:5], v[4:5], v[26:27]
	v_add_f64 v[16:17], v[16:17], v[20:21]
	v_fma_f64 v[44:45], v[48:49], s[18:19], v[121:122]
	v_fma_f64 v[121:122], v[48:49], s[18:19], -v[121:122]
	v_fma_f64 v[199:200], v[48:49], s[28:29], v[123:124]
	v_fma_f64 v[123:124], v[48:49], s[28:29], -v[123:124]
	;; [unrolled: 2-line block ×5, first 2 shown]
	v_fma_f64 v[48:49], v[52:53], s[16:17], v[8:9]
	v_add_f64 v[20:21], v[0:1], v[181:182]
	v_add_f64 v[26:27], v[2:3], v[183:184]
	v_fma_f64 v[8:9], v[52:53], s[14:15], v[8:9]
	v_fma_f64 v[207:208], v[52:53], s[30:31], v[58:59]
	v_fma_f64 v[58:59], v[52:53], s[26:27], v[58:59]
	v_fma_f64 v[209:210], v[52:53], s[34:35], v[129:130]
	v_fma_f64 v[129:130], v[52:53], s[38:39], v[129:130]
	v_fma_f64 v[211:212], v[52:53], s[20:21], v[131:132]
	v_fma_f64 v[131:132], v[52:53], s[24:25], v[131:132]
	v_fma_f64 v[213:214], v[52:53], s[4:5], v[50:51]
	v_fma_f64 v[50:51], v[52:53], s[6:7], v[50:51]
	v_fma_f64 v[52:53], v[60:61], s[22:23], v[133:134]
	v_fma_f64 v[133:134], v[60:61], s[22:23], -v[133:134]
	v_fma_f64 v[215:216], v[60:61], s[36:37], v[135:136]
	v_fma_f64 v[135:136], v[60:61], s[36:37], -v[135:136]
	v_fma_f64 v[217:218], v[60:61], s[18:19], v[137:138]
	v_fma_f64 v[137:138], v[60:61], s[18:19], -v[137:138]
	v_fma_f64 v[219:220], v[60:61], s[8:9], v[139:140]
	v_fma_f64 v[139:140], v[60:61], s[8:9], -v[139:140]
	v_fma_f64 v[221:222], v[60:61], s[28:29], v[56:57]
	v_fma_f64 v[56:57], v[60:61], s[28:29], -v[56:57]
	v_fma_f64 v[28:29], v[66:67], s[24:25], v[141:142]
	v_fma_f64 v[46:47], v[66:67], s[20:21], v[141:142]
	v_fma_f64 v[60:61], v[66:67], s[34:35], v[143:144]
	v_fma_f64 v[141:142], v[66:67], s[38:39], v[143:144]
	v_fma_f64 v[143:144], v[66:67], s[14:15], v[145:146]
	v_fma_f64 v[145:146], v[66:67], s[16:17], v[145:146]
	v_fma_f64 v[223:224], v[66:67], s[6:7], v[147:148]
	v_fma_f64 v[147:148], v[66:67], s[4:5], v[147:148]
	v_fma_f64 v[225:226], v[66:67], s[30:31], v[62:63]
	v_fma_f64 v[62:63], v[66:67], s[26:27], v[62:63]
	v_fma_f64 v[66:67], v[72:73], s[28:29], v[149:150]
	v_fma_f64 v[149:150], v[72:73], s[28:29], -v[149:150]
	v_fma_f64 v[227:228], v[72:73], s[22:23], v[151:152]
	v_fma_f64 v[151:152], v[72:73], s[22:23], -v[151:152]
	v_fma_f64 v[229:230], v[72:73], s[8:9], v[153:154]
	v_fma_f64 v[153:154], v[72:73], s[8:9], -v[153:154]
	v_fma_f64 v[231:232], v[72:73], s[36:37], v[155:156]
	v_fma_f64 v[155:156], v[72:73], s[36:37], -v[155:156]
	v_fma_f64 v[233:234], v[72:73], s[18:19], v[68:69]
	v_fma_f64 v[68:69], v[72:73], s[18:19], -v[68:69]
	v_fma_f64 v[72:73], v[95:96], s[30:31], v[157:158]
	;; [unrolled: 20-line block ×3, first 2 shown]
	v_fma_f64 v[173:174], v[101:102], s[34:35], v[173:174]
	v_fma_f64 v[247:248], v[101:102], s[4:5], v[175:176]
	;; [unrolled: 1-line block ×9, first 2 shown]
	v_add_f64 v[103:104], v[0:1], v[105:106]
	v_add_f64 v[105:106], v[2:3], v[107:108]
	;; [unrolled: 1-line block ×108, first 2 shown]
	v_add_co_u32 v4, s1, 0x800, v6
	v_add_co_ci_u32_e64 v5, s1, 0, v7, s1
	v_add_co_u32 v48, s1, 0xb60, v6
	v_add_co_ci_u32_e64 v49, s1, 0, v7, s1
	;; [unrolled: 2-line block ×3, first 2 shown]
	ds_write_b128 v79, v[0:3] offset:256
	ds_write_b128 v79, v[12:15] offset:512
	;; [unrolled: 1-line block ×10, first 2 shown]
	ds_write_b128 v79, v[44:47]
	s_waitcnt lgkmcnt(0)
	s_barrier
	buffer_gl0_inv
	s_clause 0x3
	global_load_dwordx4 v[8:11], v[4:5], off offset:736
	global_load_dwordx4 v[12:15], v[48:49], off offset:16
	;; [unrolled: 1-line block ×4, first 2 shown]
	v_add_co_u32 v0, s1, 0xb20, v6
	v_add_co_ci_u32_e64 v1, s1, 0, v7, s1
	s_clause 0x5
	global_load_dwordx4 v[24:27], v[50:51], off offset:32
	global_load_dwordx4 v[28:31], v[0:1], off offset:48
	global_load_dwordx4 v[34:37], v[50:51], off offset:48
	global_load_dwordx4 v[40:43], v[0:1], off offset:32
	global_load_dwordx4 v[44:47], v[4:5], off offset:800
	global_load_dwordx4 v[48:51], v[0:1], off offset:16
	ds_read_b128 v[52:55], v92
	ds_read_b128 v[56:59], v89 offset:28160
	ds_read_b128 v[60:63], v91
	ds_read_b128 v[64:67], v89 offset:25344
	;; [unrolled: 2-line block ×5, first 2 shown]
	ds_read_b128 v[0:3], v89
	s_waitcnt vmcnt(0) lgkmcnt(0)
	s_barrier
	buffer_gl0_inv
	v_mov_b32_e32 v79, 0
	v_mul_f64 v[4:5], v[52:53], v[10:11]
	v_mul_f64 v[6:7], v[56:57], v[14:15]
	;; [unrolled: 1-line block ×20, first 2 shown]
	v_fma_f64 v[54:55], v[54:55], v[8:9], -v[4:5]
	v_fma_f64 v[4:5], v[58:59], v[12:13], -v[6:7]
	v_fma_f64 v[58:59], v[52:53], v[8:9], v[10:11]
	v_fma_f64 v[36:37], v[62:63], v[16:17], -v[32:33]
	v_fma_f64 v[8:9], v[66:67], v[20:21], -v[38:39]
	v_fma_f64 v[6:7], v[56:57], v[12:13], v[14:15]
	v_fma_f64 v[38:39], v[60:61], v[16:17], v[18:19]
	;; [unrolled: 1-line block ×4, first 2 shown]
	v_fma_f64 v[22:23], v[70:71], v[24:25], -v[26:27]
	v_fma_f64 v[24:25], v[109:110], v[48:49], -v[123:124]
	v_fma_f64 v[26:27], v[107:108], v[48:49], v[50:51]
	v_fma_f64 v[12:13], v[74:75], v[28:29], -v[113:114]
	v_fma_f64 v[14:15], v[72:73], v[28:29], v[30:31]
	v_fma_f64 v[32:33], v[95:96], v[34:35], v[115:116]
	v_fma_f64 v[34:35], v[97:98], v[34:35], -v[117:118]
	v_fma_f64 v[16:17], v[101:102], v[40:41], -v[119:120]
	v_fma_f64 v[18:19], v[99:100], v[40:41], v[42:43]
	v_fma_f64 v[28:29], v[103:104], v[44:45], v[121:122]
	v_fma_f64 v[30:31], v[105:106], v[44:45], -v[46:47]
	v_add_f64 v[52:53], v[54:55], -v[4:5]
	v_add_f64 v[50:51], v[54:55], v[4:5]
	v_add_f64 v[48:49], v[0:1], v[58:59]
	;; [unrolled: 1-line block ×3, first 2 shown]
	v_add_f64 v[46:47], v[36:37], -v[8:9]
	v_add_f64 v[44:45], v[58:59], v[6:7]
	v_add_f64 v[42:43], v[58:59], -v[6:7]
	v_add_f64 v[40:41], v[38:39], v[10:11]
	v_add_f64 v[56:57], v[36:37], v[8:9]
	v_add_f64 v[58:59], v[38:39], -v[10:11]
	v_add_f64 v[60:61], v[22:23], -v[12:13]
	v_add_f64 v[62:63], v[20:21], v[14:15]
	v_add_f64 v[64:65], v[22:23], v[12:13]
	v_add_f64 v[66:67], v[20:21], -v[14:15]
	v_add_f64 v[68:69], v[34:35], -v[16:17]
	v_add_f64 v[72:73], v[34:35], v[16:17]
	v_add_f64 v[70:71], v[32:33], v[18:19]
	v_add_f64 v[95:96], v[30:31], -v[24:25]
	v_add_f64 v[99:100], v[30:31], v[24:25]
	v_add_f64 v[74:75], v[32:33], -v[18:19]
	v_add_f64 v[97:98], v[28:29], v[26:27]
	v_mul_f64 v[103:104], v[52:53], s[4:5]
	v_mul_f64 v[105:106], v[50:51], s[8:9]
	v_add_f64 v[38:39], v[48:49], v[38:39]
	v_add_f64 v[36:37], v[54:55], v[36:37]
	v_mul_f64 v[107:108], v[52:53], s[14:15]
	v_mul_f64 v[109:110], v[50:51], s[18:19]
	;; [unrolled: 1-line block ×14, first 2 shown]
	v_add_f64 v[101:102], v[28:29], -v[26:27]
	v_mul_f64 v[54:55], v[56:57], s[28:29]
	v_mul_f64 v[127:128], v[56:57], s[36:37]
	v_mul_f64 v[129:130], v[56:57], s[22:23]
	v_fma_f64 v[179:180], v[44:45], s[8:9], v[103:104]
	v_fma_f64 v[181:182], v[42:43], s[6:7], v[105:106]
	v_add_f64 v[20:21], v[38:39], v[20:21]
	v_add_f64 v[22:23], v[36:37], v[22:23]
	v_mul_f64 v[56:57], v[56:57], s[8:9]
	v_mul_f64 v[131:132], v[60:61], s[20:21]
	;; [unrolled: 1-line block ×20, first 2 shown]
	v_add_f64 v[20:21], v[20:21], v[32:33]
	v_add_f64 v[22:23], v[22:23], v[34:35]
	v_mul_f64 v[72:73], v[72:73], s[18:19]
	v_mul_f64 v[163:164], v[95:96], s[34:35]
	;; [unrolled: 1-line block ×11, first 2 shown]
	v_fma_f64 v[103:104], v[44:45], s[8:9], -v[103:104]
	v_fma_f64 v[105:106], v[42:43], s[4:5], v[105:106]
	v_fma_f64 v[183:184], v[44:45], s[18:19], v[107:108]
	;; [unrolled: 1-line block ×3, first 2 shown]
	v_fma_f64 v[107:108], v[44:45], s[18:19], -v[107:108]
	v_fma_f64 v[187:188], v[44:45], s[22:23], v[111:112]
	v_fma_f64 v[189:190], v[42:43], s[24:25], v[113:114]
	v_fma_f64 v[111:112], v[44:45], s[22:23], -v[111:112]
	v_fma_f64 v[191:192], v[44:45], s[28:29], v[115:116]
	v_fma_f64 v[193:194], v[42:43], s[30:31], v[117:118]
	v_fma_f64 v[115:116], v[44:45], s[28:29], -v[115:116]
	v_fma_f64 v[195:196], v[44:45], s[36:37], v[52:53]
	v_fma_f64 v[44:45], v[44:45], s[36:37], -v[52:53]
	v_fma_f64 v[52:53], v[42:43], s[38:39], v[50:51]
	v_fma_f64 v[109:110], v[42:43], s[14:15], v[109:110]
	;; [unrolled: 1-line block ×5, first 2 shown]
	v_add_f64 v[20:21], v[20:21], v[28:29]
	v_add_f64 v[22:23], v[22:23], v[30:31]
	v_fma_f64 v[50:51], v[40:41], s[18:19], v[119:120]
	v_fma_f64 v[119:120], v[40:41], s[18:19], -v[119:120]
	v_fma_f64 v[197:198], v[40:41], s[28:29], v[121:122]
	v_fma_f64 v[121:122], v[40:41], s[28:29], -v[121:122]
	;; [unrolled: 2-line block ×5, first 2 shown]
	v_fma_f64 v[46:47], v[58:59], s[16:17], v[48:49]
	v_add_f64 v[28:29], v[0:1], v[179:180]
	v_add_f64 v[30:31], v[2:3], v[181:182]
	v_fma_f64 v[48:49], v[58:59], s[14:15], v[48:49]
	v_fma_f64 v[205:206], v[58:59], s[30:31], v[54:55]
	v_fma_f64 v[54:55], v[58:59], s[26:27], v[54:55]
	v_fma_f64 v[207:208], v[58:59], s[34:35], v[127:128]
	v_fma_f64 v[127:128], v[58:59], s[38:39], v[127:128]
	v_fma_f64 v[209:210], v[58:59], s[20:21], v[129:130]
	v_fma_f64 v[129:130], v[58:59], s[24:25], v[129:130]
	v_fma_f64 v[211:212], v[58:59], s[4:5], v[56:57]
	v_fma_f64 v[56:57], v[58:59], s[6:7], v[56:57]
	v_fma_f64 v[58:59], v[62:63], s[22:23], v[131:132]
	v_fma_f64 v[131:132], v[62:63], s[22:23], -v[131:132]
	v_fma_f64 v[213:214], v[62:63], s[36:37], v[133:134]
	v_fma_f64 v[133:134], v[62:63], s[36:37], -v[133:134]
	v_fma_f64 v[215:216], v[62:63], s[18:19], v[135:136]
	v_fma_f64 v[135:136], v[62:63], s[18:19], -v[135:136]
	v_fma_f64 v[217:218], v[62:63], s[8:9], v[137:138]
	v_fma_f64 v[137:138], v[62:63], s[8:9], -v[137:138]
	v_fma_f64 v[219:220], v[62:63], s[28:29], v[60:61]
	v_fma_f64 v[60:61], v[62:63], s[28:29], -v[60:61]
	v_fma_f64 v[36:37], v[66:67], s[24:25], v[139:140]
	v_fma_f64 v[38:39], v[66:67], s[20:21], v[139:140]
	v_fma_f64 v[62:63], v[66:67], s[34:35], v[141:142]
	v_fma_f64 v[139:140], v[66:67], s[38:39], v[141:142]
	v_fma_f64 v[141:142], v[66:67], s[14:15], v[143:144]
	v_fma_f64 v[143:144], v[66:67], s[16:17], v[143:144]
	v_fma_f64 v[221:222], v[66:67], s[6:7], v[145:146]
	v_fma_f64 v[145:146], v[66:67], s[4:5], v[145:146]
	v_fma_f64 v[223:224], v[66:67], s[30:31], v[64:65]
	v_fma_f64 v[64:65], v[66:67], s[26:27], v[64:65]
	v_fma_f64 v[66:67], v[70:71], s[28:29], v[147:148]
	v_fma_f64 v[147:148], v[70:71], s[28:29], -v[147:148]
	v_fma_f64 v[225:226], v[70:71], s[22:23], v[149:150]
	v_fma_f64 v[149:150], v[70:71], s[22:23], -v[149:150]
	v_fma_f64 v[227:228], v[70:71], s[8:9], v[151:152]
	v_fma_f64 v[151:152], v[70:71], s[8:9], -v[151:152]
	v_fma_f64 v[229:230], v[70:71], s[36:37], v[153:154]
	v_fma_f64 v[153:154], v[70:71], s[36:37], -v[153:154]
	v_fma_f64 v[231:232], v[70:71], s[18:19], v[68:69]
	v_fma_f64 v[68:69], v[70:71], s[18:19], -v[68:69]
	v_fma_f64 v[70:71], v[74:75], s[30:31], v[155:156]
	;; [unrolled: 20-line block ×3, first 2 shown]
	v_fma_f64 v[171:172], v[101:102], s[34:35], v[171:172]
	v_fma_f64 v[245:246], v[101:102], s[4:5], v[173:174]
	;; [unrolled: 1-line block ×9, first 2 shown]
	v_add_f64 v[101:102], v[0:1], v[103:104]
	v_add_f64 v[103:104], v[2:3], v[105:106]
	;; [unrolled: 1-line block ×108, first 2 shown]
	ds_write_b128 v89, v[0:3] offset:2816
	ds_write_b128 v89, v[12:15] offset:5632
	;; [unrolled: 1-line block ×10, first 2 shown]
	ds_write_b128 v89, v[44:47]
	s_waitcnt lgkmcnt(0)
	s_barrier
	buffer_gl0_inv
	ds_read_b128 v[4:7], v89
	v_sub_nc_u32_e32 v10, 0, v84
	s_add_u32 s4, s12, 0x78e0
	s_addc_u32 s5, s13, 0
	s_mov_b32 s6, exec_lo
                                        ; implicit-def: $vgpr2_vgpr3
                                        ; implicit-def: $vgpr8_vgpr9
	v_cmpx_ne_u32_e32 0, v78
	s_xor_b32 s6, exec_lo, s6
	s_cbranch_execz .LBB0_25
; %bb.24:
	v_lshlrev_b64 v[0:1], 4, v[78:79]
	v_add_co_u32 v0, s1, s4, v0
	v_add_co_ci_u32_e64 v1, s1, s5, v1, s1
	global_load_dwordx4 v[11:14], v[0:1], off
	ds_read_b128 v[0:3], v10 offset:30976
	s_waitcnt lgkmcnt(0)
	v_add_f64 v[8:9], v[4:5], -v[0:1]
	v_add_f64 v[15:16], v[6:7], v[2:3]
	v_add_f64 v[2:3], v[6:7], -v[2:3]
	v_add_f64 v[0:1], v[4:5], v[0:1]
	v_mul_f64 v[6:7], v[8:9], 0.5
	v_mul_f64 v[4:5], v[15:16], 0.5
	;; [unrolled: 1-line block ×3, first 2 shown]
	s_waitcnt vmcnt(0)
	v_mul_f64 v[8:9], v[6:7], v[13:14]
	v_fma_f64 v[15:16], v[4:5], v[13:14], v[2:3]
	v_fma_f64 v[2:3], v[4:5], v[13:14], -v[2:3]
	v_fma_f64 v[17:18], v[0:1], 0.5, v[8:9]
	v_fma_f64 v[0:1], v[0:1], 0.5, -v[8:9]
	v_fma_f64 v[8:9], -v[11:12], v[6:7], v[15:16]
	v_fma_f64 v[2:3], -v[11:12], v[6:7], v[2:3]
	v_fma_f64 v[13:14], v[4:5], v[11:12], v[17:18]
	v_fma_f64 v[0:1], -v[4:5], v[11:12], v[0:1]
                                        ; implicit-def: $vgpr4_vgpr5
	ds_write_b64 v89, v[13:14]
.LBB0_25:
	s_andn2_saveexec_b32 s1, s6
	s_cbranch_execz .LBB0_27
; %bb.26:
	v_mov_b32_e32 v15, 0
	s_waitcnt lgkmcnt(0)
	v_add_f64 v[13:14], v[4:5], v[6:7]
	v_add_f64 v[0:1], v[4:5], -v[6:7]
	v_mov_b32_e32 v8, 0
	v_mov_b32_e32 v9, 0
	ds_read_b64 v[11:12], v15 offset:15496
	v_mov_b32_e32 v2, v8
	v_mov_b32_e32 v3, v9
	s_waitcnt lgkmcnt(0)
	v_xor_b32_e32 v12, 0x80000000, v12
	ds_write_b64 v89, v[13:14]
	ds_write_b64 v15, v[11:12] offset:15496
.LBB0_27:
	s_or_b32 exec_lo, exec_lo, s1
	v_mov_b32_e32 v84, 0
	ds_write_b64 v89, v[8:9] offset:8
	ds_write_b128 v10, v[0:3] offset:30976
	s_waitcnt lgkmcnt(2)
	v_lshlrev_b64 v[4:5], 4, v[83:84]
	v_mov_b32_e32 v88, v84
	v_lshlrev_b64 v[11:12], 4, v[87:88]
	v_add_co_u32 v4, s1, s4, v4
	v_add_co_ci_u32_e64 v5, s1, s5, v5, s1
	v_mov_b32_e32 v87, v84
	v_add_co_u32 v11, s1, s4, v11
	global_load_dwordx4 v[4:7], v[4:5], off
	v_add_co_ci_u32_e64 v12, s1, s5, v12, s1
	v_lshlrev_b64 v[8:9], 4, v[86:87]
	v_mov_b32_e32 v86, v84
	global_load_dwordx4 v[11:14], v[11:12], off
	ds_read_b128 v[0:3], v92
	ds_read_b128 v[15:18], v10 offset:28160
	v_add_co_u32 v8, s1, s4, v8
	v_add_co_ci_u32_e64 v9, s1, s5, v9, s1
	global_load_dwordx4 v[19:22], v[8:9], off
	s_waitcnt lgkmcnt(0)
	v_add_f64 v[8:9], v[0:1], -v[15:16]
	v_add_f64 v[23:24], v[2:3], v[17:18]
	v_add_f64 v[2:3], v[2:3], -v[17:18]
	v_add_f64 v[0:1], v[0:1], v[15:16]
	v_mul_f64 v[8:9], v[8:9], 0.5
	v_mul_f64 v[17:18], v[23:24], 0.5
	v_mul_f64 v[2:3], v[2:3], 0.5
	s_waitcnt vmcnt(2)
	v_mul_f64 v[15:16], v[8:9], v[6:7]
	v_fma_f64 v[23:24], v[17:18], v[6:7], v[2:3]
	v_fma_f64 v[6:7], v[17:18], v[6:7], -v[2:3]
	v_fma_f64 v[25:26], v[0:1], 0.5, v[15:16]
	v_fma_f64 v[15:16], v[0:1], 0.5, -v[15:16]
	v_fma_f64 v[2:3], -v[4:5], v[8:9], v[23:24]
	v_fma_f64 v[6:7], -v[4:5], v[8:9], v[6:7]
	v_lshlrev_b64 v[8:9], 4, v[85:86]
	v_add_co_u32 v8, s1, s4, v8
	v_add_co_ci_u32_e64 v9, s1, s5, v9, s1
	v_fma_f64 v[0:1], v[17:18], v[4:5], v[25:26]
	v_fma_f64 v[4:5], -v[17:18], v[4:5], v[15:16]
	ds_write_b128 v92, v[0:3]
	ds_write_b128 v10, v[4:7] offset:28160
	ds_read_b128 v[0:3], v91
	ds_read_b128 v[4:7], v10 offset:25344
	global_load_dwordx4 v[15:18], v[8:9], off
	s_waitcnt lgkmcnt(0)
	v_add_f64 v[8:9], v[0:1], -v[4:5]
	v_add_f64 v[23:24], v[2:3], v[6:7]
	v_add_f64 v[2:3], v[2:3], -v[6:7]
	v_add_f64 v[0:1], v[0:1], v[4:5]
	v_mul_f64 v[6:7], v[8:9], 0.5
	v_mul_f64 v[8:9], v[23:24], 0.5
	;; [unrolled: 1-line block ×3, first 2 shown]
	s_waitcnt vmcnt(2)
	v_mul_f64 v[4:5], v[6:7], v[13:14]
	v_fma_f64 v[23:24], v[8:9], v[13:14], v[2:3]
	v_fma_f64 v[13:14], v[8:9], v[13:14], -v[2:3]
	v_fma_f64 v[25:26], v[0:1], 0.5, v[4:5]
	v_fma_f64 v[4:5], v[0:1], 0.5, -v[4:5]
	v_fma_f64 v[2:3], -v[11:12], v[6:7], v[23:24]
	v_fma_f64 v[6:7], -v[11:12], v[6:7], v[13:14]
	v_fma_f64 v[0:1], v[8:9], v[11:12], v[25:26]
	v_fma_f64 v[4:5], -v[8:9], v[11:12], v[4:5]
	ds_write_b128 v91, v[0:3]
	ds_write_b128 v10, v[4:7] offset:25344
	ds_read_b128 v[0:3], v94
	ds_read_b128 v[4:7], v10 offset:22528
	s_waitcnt lgkmcnt(0)
	v_add_f64 v[8:9], v[0:1], -v[4:5]
	v_add_f64 v[11:12], v[2:3], v[6:7]
	v_add_f64 v[2:3], v[2:3], -v[6:7]
	v_add_f64 v[0:1], v[0:1], v[4:5]
	v_mul_f64 v[6:7], v[8:9], 0.5
	v_mul_f64 v[8:9], v[11:12], 0.5
	;; [unrolled: 1-line block ×3, first 2 shown]
	s_waitcnt vmcnt(1)
	v_mul_f64 v[4:5], v[6:7], v[21:22]
	v_fma_f64 v[11:12], v[8:9], v[21:22], v[2:3]
	v_fma_f64 v[13:14], v[8:9], v[21:22], -v[2:3]
	v_fma_f64 v[21:22], v[0:1], 0.5, v[4:5]
	v_fma_f64 v[4:5], v[0:1], 0.5, -v[4:5]
	v_fma_f64 v[2:3], -v[19:20], v[6:7], v[11:12]
	v_fma_f64 v[6:7], -v[19:20], v[6:7], v[13:14]
	v_fma_f64 v[0:1], v[8:9], v[19:20], v[21:22]
	v_fma_f64 v[4:5], -v[8:9], v[19:20], v[4:5]
	ds_write_b128 v94, v[0:3]
	ds_write_b128 v10, v[4:7] offset:22528
	ds_read_b128 v[0:3], v93
	ds_read_b128 v[4:7], v10 offset:19712
	s_waitcnt lgkmcnt(0)
	v_add_f64 v[8:9], v[0:1], -v[4:5]
	v_add_f64 v[11:12], v[2:3], v[6:7]
	v_add_f64 v[2:3], v[2:3], -v[6:7]
	v_add_f64 v[0:1], v[0:1], v[4:5]
	v_mul_f64 v[6:7], v[8:9], 0.5
	v_mul_f64 v[8:9], v[11:12], 0.5
	;; [unrolled: 1-line block ×3, first 2 shown]
	s_waitcnt vmcnt(0)
	v_mul_f64 v[4:5], v[6:7], v[17:18]
	v_fma_f64 v[11:12], v[8:9], v[17:18], v[2:3]
	v_fma_f64 v[13:14], v[8:9], v[17:18], -v[2:3]
	v_fma_f64 v[17:18], v[0:1], 0.5, v[4:5]
	v_fma_f64 v[4:5], v[0:1], 0.5, -v[4:5]
	v_fma_f64 v[2:3], -v[15:16], v[6:7], v[11:12]
	v_fma_f64 v[6:7], -v[15:16], v[6:7], v[13:14]
	v_fma_f64 v[0:1], v[8:9], v[15:16], v[17:18]
	v_fma_f64 v[4:5], -v[8:9], v[15:16], v[4:5]
	ds_write_b128 v93, v[0:3]
	ds_write_b128 v10, v[4:7] offset:19712
	s_and_saveexec_b32 s1, s0
	s_cbranch_execz .LBB0_29
; %bb.28:
	v_mov_b32_e32 v83, v84
	v_lshlrev_b64 v[0:1], 4, v[82:83]
	v_add_co_u32 v0, s0, s4, v0
	v_add_co_ci_u32_e64 v1, s0, s5, v1, s0
	global_load_dwordx4 v[0:3], v[0:1], off
	ds_read_b128 v[4:7], v90
	ds_read_b128 v[11:14], v10 offset:16896
	s_waitcnt lgkmcnt(0)
	v_add_f64 v[8:9], v[4:5], -v[11:12]
	v_add_f64 v[15:16], v[6:7], v[13:14]
	v_add_f64 v[6:7], v[6:7], -v[13:14]
	v_add_f64 v[4:5], v[4:5], v[11:12]
	v_mul_f64 v[8:9], v[8:9], 0.5
	v_mul_f64 v[13:14], v[15:16], 0.5
	;; [unrolled: 1-line block ×3, first 2 shown]
	s_waitcnt vmcnt(0)
	v_mul_f64 v[11:12], v[8:9], v[2:3]
	v_fma_f64 v[15:16], v[13:14], v[2:3], v[6:7]
	v_fma_f64 v[2:3], v[13:14], v[2:3], -v[6:7]
	v_fma_f64 v[6:7], v[4:5], 0.5, v[11:12]
	v_fma_f64 v[11:12], v[4:5], 0.5, -v[11:12]
	v_fma_f64 v[4:5], -v[0:1], v[8:9], v[15:16]
	v_fma_f64 v[8:9], -v[0:1], v[8:9], v[2:3]
	v_fma_f64 v[2:3], v[13:14], v[0:1], v[6:7]
	v_fma_f64 v[6:7], -v[13:14], v[0:1], v[11:12]
	ds_write_b128 v90, v[2:5]
	ds_write_b128 v10, v[6:9] offset:16896
.LBB0_29:
	s_or_b32 exec_lo, exec_lo, s1
	s_waitcnt lgkmcnt(0)
	s_barrier
	buffer_gl0_inv
	s_and_saveexec_b32 s0, vcc_lo
	s_cbranch_execz .LBB0_32
; %bb.30:
	v_mul_lo_u32 v2, s3, v80
	v_mul_lo_u32 v3, s2, v81
	v_mad_u64_u32 v[0:1], null, s2, v80, 0
	v_mov_b32_e32 v79, 0
	v_lshl_add_u32 v26, v78, 4, 0
	v_lshlrev_b64 v[14:15], 4, v[76:77]
	v_add_nc_u32_e32 v16, 0xb0, v78
	v_add_nc_u32_e32 v18, 0x160, v78
	v_mov_b32_e32 v17, v79
	v_add3_u32 v1, v1, v3, v2
	ds_read_b128 v[2:5], v26
	ds_read_b128 v[6:9], v26 offset:2816
	v_lshlrev_b64 v[20:21], 4, v[78:79]
	v_mov_b32_e32 v19, v79
	ds_read_b128 v[10:13], v26 offset:5632
	v_lshlrev_b64 v[0:1], 4, v[0:1]
	v_add_nc_u32_e32 v24, 0x210, v78
	v_mov_b32_e32 v25, v79
	v_lshlrev_b64 v[18:19], 4, v[18:19]
	v_add_co_u32 v0, vcc_lo, s10, v0
	v_add_co_ci_u32_e32 v1, vcc_lo, s11, v1, vcc_lo
	v_add_co_u32 v0, vcc_lo, v0, v14
	v_add_co_ci_u32_e32 v1, vcc_lo, v1, v15, vcc_lo
	v_lshlrev_b64 v[14:15], 4, v[16:17]
	v_add_co_u32 v20, vcc_lo, v0, v20
	v_add_co_ci_u32_e32 v21, vcc_lo, v1, v21, vcc_lo
	v_add_co_u32 v22, vcc_lo, v0, v14
	v_add_co_ci_u32_e32 v23, vcc_lo, v1, v15, vcc_lo
	ds_read_b128 v[14:17], v26 offset:8448
	s_waitcnt lgkmcnt(3)
	global_store_dwordx4 v[20:21], v[2:5], off
	s_waitcnt lgkmcnt(2)
	global_store_dwordx4 v[22:23], v[6:9], off
	v_lshlrev_b64 v[2:3], 4, v[24:25]
	v_add_co_u32 v4, vcc_lo, v0, v18
	v_add_co_ci_u32_e32 v5, vcc_lo, v1, v19, vcc_lo
	v_add_nc_u32_e32 v6, 0x2c0, v78
	v_add_co_u32 v2, vcc_lo, v0, v2
	v_add_co_ci_u32_e32 v3, vcc_lo, v1, v3, vcc_lo
	v_mov_b32_e32 v7, v79
	s_waitcnt lgkmcnt(1)
	global_store_dwordx4 v[4:5], v[10:13], off
	v_add_nc_u32_e32 v10, 0x370, v78
	v_mov_b32_e32 v11, v79
	v_add_nc_u32_e32 v18, 0x420, v78
	v_mov_b32_e32 v19, v79
	v_add_nc_u32_e32 v20, 0x4d0, v78
	s_waitcnt lgkmcnt(0)
	global_store_dwordx4 v[2:3], v[14:17], off
	v_lshlrev_b64 v[14:15], 4, v[6:7]
	ds_read_b128 v[2:5], v26 offset:11264
	ds_read_b128 v[6:9], v26 offset:14080
	v_lshlrev_b64 v[16:17], 4, v[10:11]
	ds_read_b128 v[10:13], v26 offset:16896
	v_lshlrev_b64 v[18:19], 4, v[18:19]
	v_mov_b32_e32 v21, v79
	v_add_co_u32 v14, vcc_lo, v0, v14
	v_add_co_ci_u32_e32 v15, vcc_lo, v1, v15, vcc_lo
	v_add_co_u32 v16, vcc_lo, v0, v16
	v_add_co_ci_u32_e32 v17, vcc_lo, v1, v17, vcc_lo
	v_add_co_u32 v18, vcc_lo, v0, v18
	s_waitcnt lgkmcnt(2)
	global_store_dwordx4 v[14:15], v[2:5], off
	s_waitcnt lgkmcnt(1)
	global_store_dwordx4 v[16:17], v[6:9], off
	v_lshlrev_b64 v[6:7], 4, v[20:21]
	v_add_co_ci_u32_e32 v19, vcc_lo, v1, v19, vcc_lo
	v_add_nc_u32_e32 v8, 0x580, v78
	v_mov_b32_e32 v9, v79
	v_add_nc_u32_e32 v14, 0x630, v78
	s_waitcnt lgkmcnt(0)
	global_store_dwordx4 v[18:19], v[10:13], off
	v_mov_b32_e32 v15, v79
	v_add_co_u32 v18, vcc_lo, v0, v6
	ds_read_b128 v[2:5], v26 offset:19712
	v_add_co_ci_u32_e32 v19, vcc_lo, v1, v7, vcc_lo
	v_lshlrev_b64 v[20:21], 4, v[8:9]
	ds_read_b128 v[6:9], v26 offset:22528
	ds_read_b128 v[10:13], v26 offset:25344
	v_add_nc_u32_e32 v24, 0x6e0, v78
	v_lshlrev_b64 v[22:23], 4, v[14:15]
	ds_read_b128 v[14:17], v26 offset:28160
	v_add_co_u32 v20, vcc_lo, v0, v20
	v_lshlrev_b64 v[24:25], 4, v[24:25]
	v_add_co_ci_u32_e32 v21, vcc_lo, v1, v21, vcc_lo
	v_add_co_u32 v22, vcc_lo, v0, v22
	v_add_co_ci_u32_e32 v23, vcc_lo, v1, v23, vcc_lo
	v_add_co_u32 v24, vcc_lo, v0, v24
	v_add_co_ci_u32_e32 v25, vcc_lo, v1, v25, vcc_lo
	v_cmp_eq_u32_e32 vcc_lo, 0xaf, v78
	s_waitcnt lgkmcnt(3)
	global_store_dwordx4 v[18:19], v[2:5], off
	s_waitcnt lgkmcnt(2)
	global_store_dwordx4 v[20:21], v[6:9], off
	;; [unrolled: 2-line block ×4, first 2 shown]
	s_and_b32 exec_lo, exec_lo, vcc_lo
	s_cbranch_execz .LBB0_32
; %bb.31:
	ds_read_b128 v[2:5], v79 offset:30976
	v_add_co_u32 v0, vcc_lo, 0x7800, v0
	v_add_co_ci_u32_e32 v1, vcc_lo, 0, v1, vcc_lo
	s_waitcnt lgkmcnt(0)
	global_store_dwordx4 v[0:1], v[2:5], off offset:256
.LBB0_32:
	s_endpgm
	.section	.rodata,"a",@progbits
	.p2align	6, 0x0
	.amdhsa_kernel fft_rtc_back_len1936_factors_2_2_4_11_11_wgs_176_tpt_176_dp_op_CI_CI_unitstride_sbrr_R2C_dirReg
		.amdhsa_group_segment_fixed_size 0
		.amdhsa_private_segment_fixed_size 0
		.amdhsa_kernarg_size 104
		.amdhsa_user_sgpr_count 6
		.amdhsa_user_sgpr_private_segment_buffer 1
		.amdhsa_user_sgpr_dispatch_ptr 0
		.amdhsa_user_sgpr_queue_ptr 0
		.amdhsa_user_sgpr_kernarg_segment_ptr 1
		.amdhsa_user_sgpr_dispatch_id 0
		.amdhsa_user_sgpr_flat_scratch_init 0
		.amdhsa_user_sgpr_private_segment_size 0
		.amdhsa_wavefront_size32 1
		.amdhsa_uses_dynamic_stack 0
		.amdhsa_system_sgpr_private_segment_wavefront_offset 0
		.amdhsa_system_sgpr_workgroup_id_x 1
		.amdhsa_system_sgpr_workgroup_id_y 0
		.amdhsa_system_sgpr_workgroup_id_z 0
		.amdhsa_system_sgpr_workgroup_info 0
		.amdhsa_system_vgpr_workitem_id 0
		.amdhsa_next_free_vgpr 255
		.amdhsa_next_free_sgpr 40
		.amdhsa_reserve_vcc 1
		.amdhsa_reserve_flat_scratch 0
		.amdhsa_float_round_mode_32 0
		.amdhsa_float_round_mode_16_64 0
		.amdhsa_float_denorm_mode_32 3
		.amdhsa_float_denorm_mode_16_64 3
		.amdhsa_dx10_clamp 1
		.amdhsa_ieee_mode 1
		.amdhsa_fp16_overflow 0
		.amdhsa_workgroup_processor_mode 1
		.amdhsa_memory_ordered 1
		.amdhsa_forward_progress 0
		.amdhsa_shared_vgpr_count 0
		.amdhsa_exception_fp_ieee_invalid_op 0
		.amdhsa_exception_fp_denorm_src 0
		.amdhsa_exception_fp_ieee_div_zero 0
		.amdhsa_exception_fp_ieee_overflow 0
		.amdhsa_exception_fp_ieee_underflow 0
		.amdhsa_exception_fp_ieee_inexact 0
		.amdhsa_exception_int_div_zero 0
	.end_amdhsa_kernel
	.text
.Lfunc_end0:
	.size	fft_rtc_back_len1936_factors_2_2_4_11_11_wgs_176_tpt_176_dp_op_CI_CI_unitstride_sbrr_R2C_dirReg, .Lfunc_end0-fft_rtc_back_len1936_factors_2_2_4_11_11_wgs_176_tpt_176_dp_op_CI_CI_unitstride_sbrr_R2C_dirReg
                                        ; -- End function
	.section	.AMDGPU.csdata,"",@progbits
; Kernel info:
; codeLenInByte = 12572
; NumSgprs: 42
; NumVgprs: 255
; ScratchSize: 0
; MemoryBound: 0
; FloatMode: 240
; IeeeMode: 1
; LDSByteSize: 0 bytes/workgroup (compile time only)
; SGPRBlocks: 5
; VGPRBlocks: 31
; NumSGPRsForWavesPerEU: 42
; NumVGPRsForWavesPerEU: 255
; Occupancy: 4
; WaveLimiterHint : 1
; COMPUTE_PGM_RSRC2:SCRATCH_EN: 0
; COMPUTE_PGM_RSRC2:USER_SGPR: 6
; COMPUTE_PGM_RSRC2:TRAP_HANDLER: 0
; COMPUTE_PGM_RSRC2:TGID_X_EN: 1
; COMPUTE_PGM_RSRC2:TGID_Y_EN: 0
; COMPUTE_PGM_RSRC2:TGID_Z_EN: 0
; COMPUTE_PGM_RSRC2:TIDIG_COMP_CNT: 0
	.text
	.p2alignl 6, 3214868480
	.fill 48, 4, 3214868480
	.type	__hip_cuid_fa5f7244c58529d0,@object ; @__hip_cuid_fa5f7244c58529d0
	.section	.bss,"aw",@nobits
	.globl	__hip_cuid_fa5f7244c58529d0
__hip_cuid_fa5f7244c58529d0:
	.byte	0                               ; 0x0
	.size	__hip_cuid_fa5f7244c58529d0, 1

	.ident	"AMD clang version 19.0.0git (https://github.com/RadeonOpenCompute/llvm-project roc-6.4.0 25133 c7fe45cf4b819c5991fe208aaa96edf142730f1d)"
	.section	".note.GNU-stack","",@progbits
	.addrsig
	.addrsig_sym __hip_cuid_fa5f7244c58529d0
	.amdgpu_metadata
---
amdhsa.kernels:
  - .args:
      - .actual_access:  read_only
        .address_space:  global
        .offset:         0
        .size:           8
        .value_kind:     global_buffer
      - .offset:         8
        .size:           8
        .value_kind:     by_value
      - .actual_access:  read_only
        .address_space:  global
        .offset:         16
        .size:           8
        .value_kind:     global_buffer
      - .actual_access:  read_only
        .address_space:  global
        .offset:         24
        .size:           8
        .value_kind:     global_buffer
      - .actual_access:  read_only
        .address_space:  global
        .offset:         32
        .size:           8
        .value_kind:     global_buffer
      - .offset:         40
        .size:           8
        .value_kind:     by_value
      - .actual_access:  read_only
        .address_space:  global
        .offset:         48
        .size:           8
        .value_kind:     global_buffer
      - .actual_access:  read_only
        .address_space:  global
        .offset:         56
        .size:           8
        .value_kind:     global_buffer
      - .offset:         64
        .size:           4
        .value_kind:     by_value
      - .actual_access:  read_only
        .address_space:  global
        .offset:         72
        .size:           8
        .value_kind:     global_buffer
      - .actual_access:  read_only
        .address_space:  global
        .offset:         80
        .size:           8
        .value_kind:     global_buffer
      - .actual_access:  read_only
        .address_space:  global
        .offset:         88
        .size:           8
        .value_kind:     global_buffer
      - .actual_access:  write_only
        .address_space:  global
        .offset:         96
        .size:           8
        .value_kind:     global_buffer
    .group_segment_fixed_size: 0
    .kernarg_segment_align: 8
    .kernarg_segment_size: 104
    .language:       OpenCL C
    .language_version:
      - 2
      - 0
    .max_flat_workgroup_size: 176
    .name:           fft_rtc_back_len1936_factors_2_2_4_11_11_wgs_176_tpt_176_dp_op_CI_CI_unitstride_sbrr_R2C_dirReg
    .private_segment_fixed_size: 0
    .sgpr_count:     42
    .sgpr_spill_count: 0
    .symbol:         fft_rtc_back_len1936_factors_2_2_4_11_11_wgs_176_tpt_176_dp_op_CI_CI_unitstride_sbrr_R2C_dirReg.kd
    .uniform_work_group_size: 1
    .uses_dynamic_stack: false
    .vgpr_count:     255
    .vgpr_spill_count: 0
    .wavefront_size: 32
    .workgroup_processor_mode: 1
amdhsa.target:   amdgcn-amd-amdhsa--gfx1030
amdhsa.version:
  - 1
  - 2
...

	.end_amdgpu_metadata
